;; amdgpu-corpus repo=zjin-lcf/HeCBench kind=compiled arch=gfx1250 opt=O3
	.amdgcn_target "amdgcn-amd-amdhsa--gfx1250"
	.amdhsa_code_object_version 6
	.section	.text._Z14ChannelSumNCHWIiLi1ELi128EEviiiPKT_PS0_S3_,"axG",@progbits,_Z14ChannelSumNCHWIiLi1ELi128EEviiiPKT_PS0_S3_,comdat
	.protected	_Z14ChannelSumNCHWIiLi1ELi128EEviiiPKT_PS0_S3_ ; -- Begin function _Z14ChannelSumNCHWIiLi1ELi128EEviiiPKT_PS0_S3_
	.globl	_Z14ChannelSumNCHWIiLi1ELi128EEviiiPKT_PS0_S3_
	.p2align	8
	.type	_Z14ChannelSumNCHWIiLi1ELi128EEviiiPKT_PS0_S3_,@function
_Z14ChannelSumNCHWIiLi1ELi128EEviiiPKT_PS0_S3_: ; @_Z14ChannelSumNCHWIiLi1ELi128EEviiiPKT_PS0_S3_
; %bb.0:
	s_load_b96 s[8:10], s[0:1], 0x0
	s_bfe_u32 s2, ttmp6, 0x4000c
	s_and_b32 s3, ttmp6, 15
	s_add_co_i32 s2, s2, 1
	v_and_b32_e32 v1, 0x3ff, v0
	s_mul_i32 s2, ttmp9, s2
	s_delay_alu instid0(SALU_CYCLE_1) | instskip(SKIP_1) | instid1(SALU_CYCLE_1)
	s_add_co_i32 s3, s3, s2
	s_getreg_b32 s2, hwreg(HW_REG_IB_STS2, 6, 4)
	s_cmp_eq_u32 s2, 0
                                        ; implicit-def: $sgpr2
	s_cselect_b32 s11, ttmp9, s3
	s_mov_b32 s3, exec_lo
	s_wait_kmcnt 0x0
	v_cmpx_le_i32_e64 s8, v1
	s_xor_b32 s3, exec_lo, s3
	s_cbranch_execz .LBB0_2
; %bb.1:
	s_load_b32 s2, s[0:1], 0x34
	s_wait_kmcnt 0x0
	s_and_b32 s2, s2, 0xffff
.LBB0_2:
	s_or_saveexec_b32 s14, s3
	s_load_b128 s[4:7], s[0:1], 0x18
	v_bfe_u32 v0, v0, 10, 10
	v_dual_mov_b32 v2, 0 :: v_dual_mov_b32 v5, s2
	v_mov_b32_e32 v3, 0
	s_xor_b32 exec_lo, exec_lo, s14
	s_cbranch_execz .LBB0_10
; %bb.3:
	s_clause 0x1
	s_load_b32 s12, s[0:1], 0x34
	s_load_b64 s[2:3], s[0:1], 0x10
	v_mad_u32 v2, v1, s9, s11
	v_mov_b32_e32 v5, v1
	s_mul_i32 s15, s10, s9
	v_cmp_gt_i32_e32 vcc_lo, s10, v0
	v_mov_b32_e32 v3, 0
	s_delay_alu instid0(VALU_DEP_4)
	v_mul_lo_u32 v4, s10, v2
	v_mov_b32_e32 v2, 0
	s_wait_kmcnt 0x0
	s_and_b32 s9, s12, 0xffff
	s_add_nc_u64 s[12:13], s[0:1], 40
	s_mul_i32 s15, s15, s9
	s_mov_b32 s1, 0
	s_branch .LBB0_5
.LBB0_4:                                ;   in Loop: Header=BB0_5 Depth=1
	s_or_b32 exec_lo, exec_lo, s16
	v_dual_add_nc_u32 v5, s9, v5 :: v_dual_add_nc_u32 v4, s15, v4
	s_delay_alu instid0(VALU_DEP_1) | instskip(SKIP_1) | instid1(SALU_CYCLE_1)
	v_cmp_le_i32_e64 s0, s8, v5
	s_or_b32 s1, s0, s1
	s_and_not1_b32 exec_lo, exec_lo, s1
	s_cbranch_execz .LBB0_9
.LBB0_5:                                ; =>This Loop Header: Depth=1
                                        ;     Child Loop BB0_7 Depth 2
	s_and_saveexec_b32 s16, vcc_lo
	s_cbranch_execz .LBB0_4
; %bb.6:                                ;   in Loop: Header=BB0_5 Depth=1
	s_load_u16 s17, s[12:13], 0xe
	v_mov_b32_e32 v6, v0
	s_mov_b32 s18, 0
.LBB0_7:                                ;   Parent Loop BB0_5 Depth=1
                                        ; =>  This Inner Loop Header: Depth=2
	s_wait_kmcnt 0x0
	s_delay_alu instid0(VALU_DEP_1)
	v_dual_add_nc_u32 v7, v4, v6 :: v_dual_add_nc_u32 v6, s17, v6
	global_load_b32 v7, v7, s[2:3] scale_offset
	v_cmp_le_i32_e64 s0, s10, v6
	s_or_b32 s18, s0, s18
	s_wait_loadcnt 0x0
	v_mad_u32 v2, v7, v7, v2
	v_add_nc_u32_e32 v3, v7, v3
	s_and_not1_b32 exec_lo, exec_lo, s18
	s_cbranch_execnz .LBB0_7
; %bb.8:                                ;   in Loop: Header=BB0_5 Depth=1
	s_or_b32 exec_lo, exec_lo, s18
	s_branch .LBB0_4
.LBB0_9:
	s_or_b32 exec_lo, exec_lo, s1
	v_mov_b32_e32 v5, s9
.LBB0_10:
	s_or_b32 exec_lo, exec_lo, s14
	s_delay_alu instid0(VALU_DEP_1) | instskip(NEXT) | instid1(VALU_DEP_2)
	v_mov_b32_dpp v4, v3 quad_perm:[1,0,3,2] row_mask:0xf bank_mask:0xf
	v_mad_u32_u24 v5, v0, v5, v1
	s_delay_alu instid0(VALU_DEP_1) | instskip(NEXT) | instid1(VALU_DEP_1)
	v_dual_add_nc_u32 v3, v4, v3 :: v_dual_lshrrev_b32 v6, 3, v5
	v_mov_b32_dpp v4, v3 quad_perm:[2,3,0,1] row_mask:0xf bank_mask:0xf
	s_delay_alu instid0(VALU_DEP_1) | instskip(NEXT) | instid1(VALU_DEP_1)
	v_add_nc_u32_e32 v3, v3, v4
	v_mov_b32_dpp v4, v3 row_ror:4 row_mask:0xf bank_mask:0xf
	s_delay_alu instid0(VALU_DEP_1) | instskip(NEXT) | instid1(VALU_DEP_1)
	v_add_nc_u32_e32 v3, v3, v4
	v_mov_b32_dpp v4, v3 row_ror:8 row_mask:0xf bank_mask:0xf
	s_delay_alu instid0(VALU_DEP_1)
	v_add_nc_u32_e32 v3, v3, v4
	ds_swizzle_b32 v4, v3 offset:swizzle(BROADCAST,32,15)
	s_wait_dscnt 0x0
	v_dual_mov_b32 v4, 0 :: v_dual_add_nc_u32 v3, v3, v4
	ds_bpermute_b32 v3, v4, v3 offset:124
	v_mbcnt_lo_u32_b32 v4, -1, 0
	s_delay_alu instid0(VALU_DEP_1)
	v_cmp_eq_u32_e32 vcc_lo, 0, v4
	s_wait_xcnt 0x0
	s_and_saveexec_b32 s0, vcc_lo
	s_cbranch_execz .LBB0_12
; %bb.11:
	v_and_b32_e32 v7, 0x1ffffffc, v6
	s_wait_dscnt 0x0
	ds_store_b32 v7, v3
.LBB0_12:
	s_or_b32 exec_lo, exec_lo, s0
	v_dual_mov_b32 v8, 0x7c :: v_dual_lshlrev_b32 v9, 2, v4
	v_cmp_gt_u32_e64 s0, 32, v5
	v_and_b32_e32 v7, 3, v4
	s_wait_dscnt 0x0
	s_delay_alu instid0(VALU_DEP_3)
	v_or_b32_e32 v5, 8, v9
	s_barrier_signal -1
	s_barrier_wait -1
	s_and_saveexec_b32 s2, s0
	s_cbranch_execz .LBB0_14
; %bb.13:
	v_cmp_ne_u32_e64 s1, 3, v7
	s_delay_alu instid0(VALU_DEP_1) | instskip(NEXT) | instid1(VALU_DEP_1)
	v_add_co_ci_u32_e64 v9, null, 0, v4, s1
	v_dual_lshlrev_b32 v3, 2, v7 :: v_dual_lshlrev_b32 v9, 2, v9
	ds_load_b32 v3, v3
	s_wait_dscnt 0x0
	ds_bpermute_b32 v9, v9, v3
	s_wait_dscnt 0x0
	v_add_nc_u32_e32 v3, v9, v3
	ds_bpermute_b32 v9, v5, v3
	s_wait_dscnt 0x0
	v_add_nc_u32_e32 v3, v9, v3
.LBB0_14:
	s_or_b32 exec_lo, exec_lo, s2
	v_mov_b32_dpp v9, v2 quad_perm:[1,0,3,2] row_mask:0xf bank_mask:0xf
	s_delay_alu instid0(VALU_DEP_1) | instskip(NEXT) | instid1(VALU_DEP_1)
	v_add_nc_u32_e32 v2, v9, v2
	v_mov_b32_dpp v9, v2 quad_perm:[2,3,0,1] row_mask:0xf bank_mask:0xf
	s_delay_alu instid0(VALU_DEP_1) | instskip(NEXT) | instid1(VALU_DEP_1)
	v_add_nc_u32_e32 v2, v2, v9
	v_mov_b32_dpp v9, v2 row_ror:4 row_mask:0xf bank_mask:0xf
	s_delay_alu instid0(VALU_DEP_1) | instskip(NEXT) | instid1(VALU_DEP_1)
	v_add_nc_u32_e32 v2, v2, v9
	v_mov_b32_dpp v9, v2 row_ror:8 row_mask:0xf bank_mask:0xf
	s_delay_alu instid0(VALU_DEP_1)
	v_add_nc_u32_e32 v2, v2, v9
	ds_swizzle_b32 v9, v2 offset:swizzle(BROADCAST,32,15)
	s_wait_dscnt 0x0
	v_add_nc_u32_e32 v2, v2, v9
	ds_bpermute_b32 v2, v8, v2
	s_and_saveexec_b32 s1, vcc_lo
	s_cbranch_execz .LBB0_16
; %bb.15:
	v_and_b32_e32 v6, 0x1ffffffc, v6
	s_wait_dscnt 0x0
	ds_store_b32 v6, v2 offset:16
.LBB0_16:
	s_or_b32 exec_lo, exec_lo, s1
	s_wait_dscnt 0x0
	s_barrier_signal -1
	s_barrier_wait -1
	s_and_saveexec_b32 s1, s0
	s_cbranch_execz .LBB0_18
; %bb.17:
	v_cmp_ne_u32_e32 vcc_lo, 3, v7
	v_add_co_ci_u32_e64 v4, null, 0, v4, vcc_lo
	s_delay_alu instid0(VALU_DEP_1)
	v_dual_lshlrev_b32 v2, 2, v7 :: v_dual_lshlrev_b32 v4, 2, v4
	ds_load_b32 v2, v2 offset:16
	s_wait_dscnt 0x0
	ds_bpermute_b32 v4, v4, v2
	s_wait_dscnt 0x0
	v_add_nc_u32_e32 v2, v4, v2
	ds_bpermute_b32 v4, v5, v2
	s_wait_dscnt 0x0
	v_add_nc_u32_e32 v2, v4, v2
.LBB0_18:
	s_or_b32 exec_lo, exec_lo, s1
	v_or_b32_e32 v0, v1, v0
	s_mov_b32 s0, exec_lo
	s_delay_alu instid0(VALU_DEP_1)
	v_cmpx_eq_u32_e32 0, v0
	s_cbranch_execz .LBB0_20
; %bb.19:
	v_mov_b32_e32 v0, s11
	s_wait_kmcnt 0x0
	s_clause 0x1
	global_store_b32 v0, v3, s[4:5] scale_offset
	global_store_b32 v0, v2, s[6:7] scale_offset
.LBB0_20:
	s_endpgm
	.section	.rodata,"a",@progbits
	.p2align	6, 0x0
	.amdhsa_kernel _Z14ChannelSumNCHWIiLi1ELi128EEviiiPKT_PS0_S3_
		.amdhsa_group_segment_fixed_size 32
		.amdhsa_private_segment_fixed_size 0
		.amdhsa_kernarg_size 296
		.amdhsa_user_sgpr_count 2
		.amdhsa_user_sgpr_dispatch_ptr 0
		.amdhsa_user_sgpr_queue_ptr 0
		.amdhsa_user_sgpr_kernarg_segment_ptr 1
		.amdhsa_user_sgpr_dispatch_id 0
		.amdhsa_user_sgpr_kernarg_preload_length 0
		.amdhsa_user_sgpr_kernarg_preload_offset 0
		.amdhsa_user_sgpr_private_segment_size 0
		.amdhsa_wavefront_size32 1
		.amdhsa_uses_dynamic_stack 0
		.amdhsa_enable_private_segment 0
		.amdhsa_system_sgpr_workgroup_id_x 1
		.amdhsa_system_sgpr_workgroup_id_y 0
		.amdhsa_system_sgpr_workgroup_id_z 0
		.amdhsa_system_sgpr_workgroup_info 0
		.amdhsa_system_vgpr_workitem_id 1
		.amdhsa_next_free_vgpr 10
		.amdhsa_next_free_sgpr 19
		.amdhsa_named_barrier_count 0
		.amdhsa_reserve_vcc 1
		.amdhsa_float_round_mode_32 0
		.amdhsa_float_round_mode_16_64 0
		.amdhsa_float_denorm_mode_32 3
		.amdhsa_float_denorm_mode_16_64 3
		.amdhsa_fp16_overflow 0
		.amdhsa_memory_ordered 1
		.amdhsa_forward_progress 1
		.amdhsa_inst_pref_size 8
		.amdhsa_round_robin_scheduling 0
		.amdhsa_exception_fp_ieee_invalid_op 0
		.amdhsa_exception_fp_denorm_src 0
		.amdhsa_exception_fp_ieee_div_zero 0
		.amdhsa_exception_fp_ieee_overflow 0
		.amdhsa_exception_fp_ieee_underflow 0
		.amdhsa_exception_fp_ieee_inexact 0
		.amdhsa_exception_int_div_zero 0
	.end_amdhsa_kernel
	.section	.text._Z14ChannelSumNCHWIiLi1ELi128EEviiiPKT_PS0_S3_,"axG",@progbits,_Z14ChannelSumNCHWIiLi1ELi128EEviiiPKT_PS0_S3_,comdat
.Lfunc_end0:
	.size	_Z14ChannelSumNCHWIiLi1ELi128EEviiiPKT_PS0_S3_, .Lfunc_end0-_Z14ChannelSumNCHWIiLi1ELi128EEviiiPKT_PS0_S3_
                                        ; -- End function
	.set _Z14ChannelSumNCHWIiLi1ELi128EEviiiPKT_PS0_S3_.num_vgpr, 10
	.set _Z14ChannelSumNCHWIiLi1ELi128EEviiiPKT_PS0_S3_.num_agpr, 0
	.set _Z14ChannelSumNCHWIiLi1ELi128EEviiiPKT_PS0_S3_.numbered_sgpr, 19
	.set _Z14ChannelSumNCHWIiLi1ELi128EEviiiPKT_PS0_S3_.num_named_barrier, 0
	.set _Z14ChannelSumNCHWIiLi1ELi128EEviiiPKT_PS0_S3_.private_seg_size, 0
	.set _Z14ChannelSumNCHWIiLi1ELi128EEviiiPKT_PS0_S3_.uses_vcc, 1
	.set _Z14ChannelSumNCHWIiLi1ELi128EEviiiPKT_PS0_S3_.uses_flat_scratch, 0
	.set _Z14ChannelSumNCHWIiLi1ELi128EEviiiPKT_PS0_S3_.has_dyn_sized_stack, 0
	.set _Z14ChannelSumNCHWIiLi1ELi128EEviiiPKT_PS0_S3_.has_recursion, 0
	.set _Z14ChannelSumNCHWIiLi1ELi128EEviiiPKT_PS0_S3_.has_indirect_call, 0
	.section	.AMDGPU.csdata,"",@progbits
; Kernel info:
; codeLenInByte = 952
; TotalNumSgprs: 21
; NumVgprs: 10
; ScratchSize: 0
; MemoryBound: 0
; FloatMode: 240
; IeeeMode: 1
; LDSByteSize: 32 bytes/workgroup (compile time only)
; SGPRBlocks: 0
; VGPRBlocks: 0
; NumSGPRsForWavesPerEU: 21
; NumVGPRsForWavesPerEU: 10
; NamedBarCnt: 0
; Occupancy: 16
; WaveLimiterHint : 0
; COMPUTE_PGM_RSRC2:SCRATCH_EN: 0
; COMPUTE_PGM_RSRC2:USER_SGPR: 2
; COMPUTE_PGM_RSRC2:TRAP_HANDLER: 0
; COMPUTE_PGM_RSRC2:TGID_X_EN: 1
; COMPUTE_PGM_RSRC2:TGID_Y_EN: 0
; COMPUTE_PGM_RSRC2:TGID_Z_EN: 0
; COMPUTE_PGM_RSRC2:TIDIG_COMP_CNT: 1
	.section	.text._Z14ChannelSumNCHWIiLi2ELi64EEviiiPKT_PS0_S3_,"axG",@progbits,_Z14ChannelSumNCHWIiLi2ELi64EEviiiPKT_PS0_S3_,comdat
	.protected	_Z14ChannelSumNCHWIiLi2ELi64EEviiiPKT_PS0_S3_ ; -- Begin function _Z14ChannelSumNCHWIiLi2ELi64EEviiiPKT_PS0_S3_
	.globl	_Z14ChannelSumNCHWIiLi2ELi64EEviiiPKT_PS0_S3_
	.p2align	8
	.type	_Z14ChannelSumNCHWIiLi2ELi64EEviiiPKT_PS0_S3_,@function
_Z14ChannelSumNCHWIiLi2ELi64EEviiiPKT_PS0_S3_: ; @_Z14ChannelSumNCHWIiLi2ELi64EEviiiPKT_PS0_S3_
; %bb.0:
	s_load_b96 s[8:10], s[0:1], 0x0
	s_bfe_u32 s2, ttmp6, 0x4000c
	s_and_b32 s3, ttmp6, 15
	s_add_co_i32 s2, s2, 1
	v_and_b32_e32 v1, 0x3ff, v0
	s_mul_i32 s2, ttmp9, s2
	s_delay_alu instid0(SALU_CYCLE_1) | instskip(SKIP_1) | instid1(SALU_CYCLE_1)
	s_add_co_i32 s3, s3, s2
	s_getreg_b32 s2, hwreg(HW_REG_IB_STS2, 6, 4)
	s_cmp_eq_u32 s2, 0
                                        ; implicit-def: $sgpr2
	s_cselect_b32 s11, ttmp9, s3
	s_mov_b32 s3, exec_lo
	s_wait_kmcnt 0x0
	v_cmpx_le_i32_e64 s8, v1
	s_xor_b32 s3, exec_lo, s3
	s_cbranch_execz .LBB1_2
; %bb.1:
	s_load_b32 s2, s[0:1], 0x34
	s_wait_kmcnt 0x0
	s_and_b32 s2, s2, 0xffff
.LBB1_2:
	s_or_saveexec_b32 s14, s3
	s_load_b128 s[4:7], s[0:1], 0x18
	v_bfe_u32 v0, v0, 10, 10
	v_dual_mov_b32 v2, 0 :: v_dual_mov_b32 v5, s2
	v_mov_b32_e32 v3, 0
	s_xor_b32 exec_lo, exec_lo, s14
	s_cbranch_execz .LBB1_10
; %bb.3:
	s_clause 0x1
	s_load_b32 s12, s[0:1], 0x34
	s_load_b64 s[2:3], s[0:1], 0x10
	v_mad_u32 v2, v1, s9, s11
	v_mov_b32_e32 v5, v1
	s_mul_i32 s15, s10, s9
	v_cmp_gt_i32_e32 vcc_lo, s10, v0
	v_mov_b32_e32 v3, 0
	s_delay_alu instid0(VALU_DEP_4)
	v_mul_lo_u32 v4, s10, v2
	v_mov_b32_e32 v2, 0
	s_wait_kmcnt 0x0
	s_and_b32 s9, s12, 0xffff
	s_add_nc_u64 s[12:13], s[0:1], 40
	s_mul_i32 s15, s15, s9
	s_mov_b32 s1, 0
	s_branch .LBB1_5
.LBB1_4:                                ;   in Loop: Header=BB1_5 Depth=1
	s_or_b32 exec_lo, exec_lo, s16
	v_dual_add_nc_u32 v5, s9, v5 :: v_dual_add_nc_u32 v4, s15, v4
	s_delay_alu instid0(VALU_DEP_1) | instskip(SKIP_1) | instid1(SALU_CYCLE_1)
	v_cmp_le_i32_e64 s0, s8, v5
	s_or_b32 s1, s0, s1
	s_and_not1_b32 exec_lo, exec_lo, s1
	s_cbranch_execz .LBB1_9
.LBB1_5:                                ; =>This Loop Header: Depth=1
                                        ;     Child Loop BB1_7 Depth 2
	s_and_saveexec_b32 s16, vcc_lo
	s_cbranch_execz .LBB1_4
; %bb.6:                                ;   in Loop: Header=BB1_5 Depth=1
	s_load_u16 s17, s[12:13], 0xe
	v_mov_b32_e32 v6, v0
	s_mov_b32 s18, 0
.LBB1_7:                                ;   Parent Loop BB1_5 Depth=1
                                        ; =>  This Inner Loop Header: Depth=2
	s_wait_kmcnt 0x0
	s_delay_alu instid0(VALU_DEP_1)
	v_dual_add_nc_u32 v7, v4, v6 :: v_dual_add_nc_u32 v6, s17, v6
	global_load_b32 v7, v7, s[2:3] scale_offset
	v_cmp_le_i32_e64 s0, s10, v6
	s_or_b32 s18, s0, s18
	s_wait_loadcnt 0x0
	v_mad_u32 v2, v7, v7, v2
	v_add_nc_u32_e32 v3, v7, v3
	s_and_not1_b32 exec_lo, exec_lo, s18
	s_cbranch_execnz .LBB1_7
; %bb.8:                                ;   in Loop: Header=BB1_5 Depth=1
	s_or_b32 exec_lo, exec_lo, s18
	s_branch .LBB1_4
.LBB1_9:
	s_or_b32 exec_lo, exec_lo, s1
	v_mov_b32_e32 v5, s9
.LBB1_10:
	s_or_b32 exec_lo, exec_lo, s14
	s_delay_alu instid0(VALU_DEP_1) | instskip(NEXT) | instid1(VALU_DEP_2)
	v_mov_b32_dpp v4, v3 quad_perm:[1,0,3,2] row_mask:0xf bank_mask:0xf
	v_mad_u32_u24 v5, v0, v5, v1
	s_delay_alu instid0(VALU_DEP_1) | instskip(NEXT) | instid1(VALU_DEP_1)
	v_dual_add_nc_u32 v3, v4, v3 :: v_dual_lshrrev_b32 v6, 3, v5
	v_mov_b32_dpp v4, v3 quad_perm:[2,3,0,1] row_mask:0xf bank_mask:0xf
	s_delay_alu instid0(VALU_DEP_1) | instskip(NEXT) | instid1(VALU_DEP_1)
	v_add_nc_u32_e32 v3, v3, v4
	v_mov_b32_dpp v4, v3 row_ror:4 row_mask:0xf bank_mask:0xf
	s_delay_alu instid0(VALU_DEP_1) | instskip(NEXT) | instid1(VALU_DEP_1)
	v_add_nc_u32_e32 v3, v3, v4
	v_mov_b32_dpp v4, v3 row_ror:8 row_mask:0xf bank_mask:0xf
	s_delay_alu instid0(VALU_DEP_1)
	v_add_nc_u32_e32 v3, v3, v4
	ds_swizzle_b32 v4, v3 offset:swizzle(BROADCAST,32,15)
	s_wait_dscnt 0x0
	v_dual_mov_b32 v4, 0 :: v_dual_add_nc_u32 v3, v3, v4
	ds_bpermute_b32 v3, v4, v3 offset:124
	v_mbcnt_lo_u32_b32 v4, -1, 0
	s_delay_alu instid0(VALU_DEP_1)
	v_cmp_eq_u32_e32 vcc_lo, 0, v4
	s_wait_xcnt 0x0
	s_and_saveexec_b32 s0, vcc_lo
	s_cbranch_execz .LBB1_12
; %bb.11:
	v_and_b32_e32 v7, 0x1ffffffc, v6
	s_wait_dscnt 0x0
	ds_store_b32 v7, v3
.LBB1_12:
	s_or_b32 exec_lo, exec_lo, s0
	v_dual_mov_b32 v8, 0x7c :: v_dual_lshlrev_b32 v9, 2, v4
	v_cmp_gt_u32_e64 s0, 32, v5
	v_and_b32_e32 v7, 3, v4
	s_wait_dscnt 0x0
	s_delay_alu instid0(VALU_DEP_3)
	v_or_b32_e32 v5, 8, v9
	s_barrier_signal -1
	s_barrier_wait -1
	s_and_saveexec_b32 s2, s0
	s_cbranch_execz .LBB1_14
; %bb.13:
	v_cmp_ne_u32_e64 s1, 3, v7
	s_delay_alu instid0(VALU_DEP_1) | instskip(NEXT) | instid1(VALU_DEP_1)
	v_add_co_ci_u32_e64 v9, null, 0, v4, s1
	v_dual_lshlrev_b32 v3, 2, v7 :: v_dual_lshlrev_b32 v9, 2, v9
	ds_load_b32 v3, v3
	s_wait_dscnt 0x0
	ds_bpermute_b32 v9, v9, v3
	s_wait_dscnt 0x0
	v_add_nc_u32_e32 v3, v9, v3
	ds_bpermute_b32 v9, v5, v3
	s_wait_dscnt 0x0
	v_add_nc_u32_e32 v3, v9, v3
.LBB1_14:
	s_or_b32 exec_lo, exec_lo, s2
	v_mov_b32_dpp v9, v2 quad_perm:[1,0,3,2] row_mask:0xf bank_mask:0xf
	s_delay_alu instid0(VALU_DEP_1) | instskip(NEXT) | instid1(VALU_DEP_1)
	v_add_nc_u32_e32 v2, v9, v2
	v_mov_b32_dpp v9, v2 quad_perm:[2,3,0,1] row_mask:0xf bank_mask:0xf
	s_delay_alu instid0(VALU_DEP_1) | instskip(NEXT) | instid1(VALU_DEP_1)
	v_add_nc_u32_e32 v2, v2, v9
	v_mov_b32_dpp v9, v2 row_ror:4 row_mask:0xf bank_mask:0xf
	s_delay_alu instid0(VALU_DEP_1) | instskip(NEXT) | instid1(VALU_DEP_1)
	v_add_nc_u32_e32 v2, v2, v9
	v_mov_b32_dpp v9, v2 row_ror:8 row_mask:0xf bank_mask:0xf
	s_delay_alu instid0(VALU_DEP_1)
	v_add_nc_u32_e32 v2, v2, v9
	ds_swizzle_b32 v9, v2 offset:swizzle(BROADCAST,32,15)
	s_wait_dscnt 0x0
	v_add_nc_u32_e32 v2, v2, v9
	ds_bpermute_b32 v2, v8, v2
	s_and_saveexec_b32 s1, vcc_lo
	s_cbranch_execz .LBB1_16
; %bb.15:
	v_and_b32_e32 v6, 0x1ffffffc, v6
	s_wait_dscnt 0x0
	ds_store_b32 v6, v2 offset:16
.LBB1_16:
	s_or_b32 exec_lo, exec_lo, s1
	s_wait_dscnt 0x0
	s_barrier_signal -1
	s_barrier_wait -1
	s_and_saveexec_b32 s1, s0
	s_cbranch_execz .LBB1_18
; %bb.17:
	v_cmp_ne_u32_e32 vcc_lo, 3, v7
	v_add_co_ci_u32_e64 v4, null, 0, v4, vcc_lo
	s_delay_alu instid0(VALU_DEP_1)
	v_dual_lshlrev_b32 v2, 2, v7 :: v_dual_lshlrev_b32 v4, 2, v4
	ds_load_b32 v2, v2 offset:16
	s_wait_dscnt 0x0
	ds_bpermute_b32 v4, v4, v2
	s_wait_dscnt 0x0
	v_add_nc_u32_e32 v2, v4, v2
	ds_bpermute_b32 v4, v5, v2
	s_wait_dscnt 0x0
	v_add_nc_u32_e32 v2, v4, v2
.LBB1_18:
	s_or_b32 exec_lo, exec_lo, s1
	v_or_b32_e32 v0, v1, v0
	s_mov_b32 s0, exec_lo
	s_delay_alu instid0(VALU_DEP_1)
	v_cmpx_eq_u32_e32 0, v0
	s_cbranch_execz .LBB1_20
; %bb.19:
	v_mov_b32_e32 v0, s11
	s_wait_kmcnt 0x0
	s_clause 0x1
	global_store_b32 v0, v3, s[4:5] scale_offset
	global_store_b32 v0, v2, s[6:7] scale_offset
.LBB1_20:
	s_endpgm
	.section	.rodata,"a",@progbits
	.p2align	6, 0x0
	.amdhsa_kernel _Z14ChannelSumNCHWIiLi2ELi64EEviiiPKT_PS0_S3_
		.amdhsa_group_segment_fixed_size 32
		.amdhsa_private_segment_fixed_size 0
		.amdhsa_kernarg_size 296
		.amdhsa_user_sgpr_count 2
		.amdhsa_user_sgpr_dispatch_ptr 0
		.amdhsa_user_sgpr_queue_ptr 0
		.amdhsa_user_sgpr_kernarg_segment_ptr 1
		.amdhsa_user_sgpr_dispatch_id 0
		.amdhsa_user_sgpr_kernarg_preload_length 0
		.amdhsa_user_sgpr_kernarg_preload_offset 0
		.amdhsa_user_sgpr_private_segment_size 0
		.amdhsa_wavefront_size32 1
		.amdhsa_uses_dynamic_stack 0
		.amdhsa_enable_private_segment 0
		.amdhsa_system_sgpr_workgroup_id_x 1
		.amdhsa_system_sgpr_workgroup_id_y 0
		.amdhsa_system_sgpr_workgroup_id_z 0
		.amdhsa_system_sgpr_workgroup_info 0
		.amdhsa_system_vgpr_workitem_id 1
		.amdhsa_next_free_vgpr 10
		.amdhsa_next_free_sgpr 19
		.amdhsa_named_barrier_count 0
		.amdhsa_reserve_vcc 1
		.amdhsa_float_round_mode_32 0
		.amdhsa_float_round_mode_16_64 0
		.amdhsa_float_denorm_mode_32 3
		.amdhsa_float_denorm_mode_16_64 3
		.amdhsa_fp16_overflow 0
		.amdhsa_memory_ordered 1
		.amdhsa_forward_progress 1
		.amdhsa_inst_pref_size 8
		.amdhsa_round_robin_scheduling 0
		.amdhsa_exception_fp_ieee_invalid_op 0
		.amdhsa_exception_fp_denorm_src 0
		.amdhsa_exception_fp_ieee_div_zero 0
		.amdhsa_exception_fp_ieee_overflow 0
		.amdhsa_exception_fp_ieee_underflow 0
		.amdhsa_exception_fp_ieee_inexact 0
		.amdhsa_exception_int_div_zero 0
	.end_amdhsa_kernel
	.section	.text._Z14ChannelSumNCHWIiLi2ELi64EEviiiPKT_PS0_S3_,"axG",@progbits,_Z14ChannelSumNCHWIiLi2ELi64EEviiiPKT_PS0_S3_,comdat
.Lfunc_end1:
	.size	_Z14ChannelSumNCHWIiLi2ELi64EEviiiPKT_PS0_S3_, .Lfunc_end1-_Z14ChannelSumNCHWIiLi2ELi64EEviiiPKT_PS0_S3_
                                        ; -- End function
	.set _Z14ChannelSumNCHWIiLi2ELi64EEviiiPKT_PS0_S3_.num_vgpr, 10
	.set _Z14ChannelSumNCHWIiLi2ELi64EEviiiPKT_PS0_S3_.num_agpr, 0
	.set _Z14ChannelSumNCHWIiLi2ELi64EEviiiPKT_PS0_S3_.numbered_sgpr, 19
	.set _Z14ChannelSumNCHWIiLi2ELi64EEviiiPKT_PS0_S3_.num_named_barrier, 0
	.set _Z14ChannelSumNCHWIiLi2ELi64EEviiiPKT_PS0_S3_.private_seg_size, 0
	.set _Z14ChannelSumNCHWIiLi2ELi64EEviiiPKT_PS0_S3_.uses_vcc, 1
	.set _Z14ChannelSumNCHWIiLi2ELi64EEviiiPKT_PS0_S3_.uses_flat_scratch, 0
	.set _Z14ChannelSumNCHWIiLi2ELi64EEviiiPKT_PS0_S3_.has_dyn_sized_stack, 0
	.set _Z14ChannelSumNCHWIiLi2ELi64EEviiiPKT_PS0_S3_.has_recursion, 0
	.set _Z14ChannelSumNCHWIiLi2ELi64EEviiiPKT_PS0_S3_.has_indirect_call, 0
	.section	.AMDGPU.csdata,"",@progbits
; Kernel info:
; codeLenInByte = 952
; TotalNumSgprs: 21
; NumVgprs: 10
; ScratchSize: 0
; MemoryBound: 0
; FloatMode: 240
; IeeeMode: 1
; LDSByteSize: 32 bytes/workgroup (compile time only)
; SGPRBlocks: 0
; VGPRBlocks: 0
; NumSGPRsForWavesPerEU: 21
; NumVGPRsForWavesPerEU: 10
; NamedBarCnt: 0
; Occupancy: 16
; WaveLimiterHint : 0
; COMPUTE_PGM_RSRC2:SCRATCH_EN: 0
; COMPUTE_PGM_RSRC2:USER_SGPR: 2
; COMPUTE_PGM_RSRC2:TRAP_HANDLER: 0
; COMPUTE_PGM_RSRC2:TGID_X_EN: 1
; COMPUTE_PGM_RSRC2:TGID_Y_EN: 0
; COMPUTE_PGM_RSRC2:TGID_Z_EN: 0
; COMPUTE_PGM_RSRC2:TIDIG_COMP_CNT: 1
	.section	.text._Z14ChannelSumNCHWIiLi4ELi32EEviiiPKT_PS0_S3_,"axG",@progbits,_Z14ChannelSumNCHWIiLi4ELi32EEviiiPKT_PS0_S3_,comdat
	.protected	_Z14ChannelSumNCHWIiLi4ELi32EEviiiPKT_PS0_S3_ ; -- Begin function _Z14ChannelSumNCHWIiLi4ELi32EEviiiPKT_PS0_S3_
	.globl	_Z14ChannelSumNCHWIiLi4ELi32EEviiiPKT_PS0_S3_
	.p2align	8
	.type	_Z14ChannelSumNCHWIiLi4ELi32EEviiiPKT_PS0_S3_,@function
_Z14ChannelSumNCHWIiLi4ELi32EEviiiPKT_PS0_S3_: ; @_Z14ChannelSumNCHWIiLi4ELi32EEviiiPKT_PS0_S3_
; %bb.0:
	s_load_b96 s[8:10], s[0:1], 0x0
	s_bfe_u32 s2, ttmp6, 0x4000c
	s_and_b32 s3, ttmp6, 15
	s_add_co_i32 s2, s2, 1
	v_and_b32_e32 v1, 0x3ff, v0
	s_mul_i32 s2, ttmp9, s2
	s_delay_alu instid0(SALU_CYCLE_1) | instskip(SKIP_1) | instid1(SALU_CYCLE_1)
	s_add_co_i32 s3, s3, s2
	s_getreg_b32 s2, hwreg(HW_REG_IB_STS2, 6, 4)
	s_cmp_eq_u32 s2, 0
                                        ; implicit-def: $sgpr2
	s_cselect_b32 s11, ttmp9, s3
	s_mov_b32 s3, exec_lo
	s_wait_kmcnt 0x0
	v_cmpx_le_i32_e64 s8, v1
	s_xor_b32 s3, exec_lo, s3
	s_cbranch_execz .LBB2_2
; %bb.1:
	s_load_b32 s2, s[0:1], 0x34
	s_wait_kmcnt 0x0
	s_and_b32 s2, s2, 0xffff
.LBB2_2:
	s_or_saveexec_b32 s14, s3
	s_load_b128 s[4:7], s[0:1], 0x18
	v_bfe_u32 v0, v0, 10, 10
	v_dual_mov_b32 v2, 0 :: v_dual_mov_b32 v5, s2
	v_mov_b32_e32 v3, 0
	s_xor_b32 exec_lo, exec_lo, s14
	s_cbranch_execz .LBB2_10
; %bb.3:
	s_clause 0x1
	s_load_b32 s12, s[0:1], 0x34
	s_load_b64 s[2:3], s[0:1], 0x10
	v_mad_u32 v2, v1, s9, s11
	v_mov_b32_e32 v5, v1
	s_mul_i32 s15, s10, s9
	v_cmp_gt_i32_e32 vcc_lo, s10, v0
	v_mov_b32_e32 v3, 0
	s_delay_alu instid0(VALU_DEP_4)
	v_mul_lo_u32 v4, s10, v2
	v_mov_b32_e32 v2, 0
	s_wait_kmcnt 0x0
	s_and_b32 s9, s12, 0xffff
	s_add_nc_u64 s[12:13], s[0:1], 40
	s_mul_i32 s15, s15, s9
	s_mov_b32 s1, 0
	s_branch .LBB2_5
.LBB2_4:                                ;   in Loop: Header=BB2_5 Depth=1
	s_or_b32 exec_lo, exec_lo, s16
	v_dual_add_nc_u32 v5, s9, v5 :: v_dual_add_nc_u32 v4, s15, v4
	s_delay_alu instid0(VALU_DEP_1) | instskip(SKIP_1) | instid1(SALU_CYCLE_1)
	v_cmp_le_i32_e64 s0, s8, v5
	s_or_b32 s1, s0, s1
	s_and_not1_b32 exec_lo, exec_lo, s1
	s_cbranch_execz .LBB2_9
.LBB2_5:                                ; =>This Loop Header: Depth=1
                                        ;     Child Loop BB2_7 Depth 2
	s_and_saveexec_b32 s16, vcc_lo
	s_cbranch_execz .LBB2_4
; %bb.6:                                ;   in Loop: Header=BB2_5 Depth=1
	s_load_u16 s17, s[12:13], 0xe
	v_mov_b32_e32 v6, v0
	s_mov_b32 s18, 0
.LBB2_7:                                ;   Parent Loop BB2_5 Depth=1
                                        ; =>  This Inner Loop Header: Depth=2
	s_wait_kmcnt 0x0
	s_delay_alu instid0(VALU_DEP_1)
	v_dual_add_nc_u32 v7, v4, v6 :: v_dual_add_nc_u32 v6, s17, v6
	global_load_b32 v7, v7, s[2:3] scale_offset
	v_cmp_le_i32_e64 s0, s10, v6
	s_or_b32 s18, s0, s18
	s_wait_loadcnt 0x0
	v_mad_u32 v2, v7, v7, v2
	v_add_nc_u32_e32 v3, v7, v3
	s_and_not1_b32 exec_lo, exec_lo, s18
	s_cbranch_execnz .LBB2_7
; %bb.8:                                ;   in Loop: Header=BB2_5 Depth=1
	s_or_b32 exec_lo, exec_lo, s18
	s_branch .LBB2_4
.LBB2_9:
	s_or_b32 exec_lo, exec_lo, s1
	v_mov_b32_e32 v5, s9
.LBB2_10:
	s_or_b32 exec_lo, exec_lo, s14
	s_delay_alu instid0(VALU_DEP_1) | instskip(NEXT) | instid1(VALU_DEP_2)
	v_mov_b32_dpp v4, v3 quad_perm:[1,0,3,2] row_mask:0xf bank_mask:0xf
	v_mad_u32_u24 v5, v0, v5, v1
	s_delay_alu instid0(VALU_DEP_1) | instskip(NEXT) | instid1(VALU_DEP_1)
	v_dual_add_nc_u32 v3, v4, v3 :: v_dual_lshrrev_b32 v6, 3, v5
	v_mov_b32_dpp v4, v3 quad_perm:[2,3,0,1] row_mask:0xf bank_mask:0xf
	s_delay_alu instid0(VALU_DEP_1) | instskip(NEXT) | instid1(VALU_DEP_1)
	v_add_nc_u32_e32 v3, v3, v4
	v_mov_b32_dpp v4, v3 row_ror:4 row_mask:0xf bank_mask:0xf
	s_delay_alu instid0(VALU_DEP_1) | instskip(NEXT) | instid1(VALU_DEP_1)
	v_add_nc_u32_e32 v3, v3, v4
	v_mov_b32_dpp v4, v3 row_ror:8 row_mask:0xf bank_mask:0xf
	s_delay_alu instid0(VALU_DEP_1)
	v_add_nc_u32_e32 v3, v3, v4
	ds_swizzle_b32 v4, v3 offset:swizzle(BROADCAST,32,15)
	s_wait_dscnt 0x0
	v_dual_mov_b32 v4, 0 :: v_dual_add_nc_u32 v3, v3, v4
	ds_bpermute_b32 v3, v4, v3 offset:124
	v_mbcnt_lo_u32_b32 v4, -1, 0
	s_delay_alu instid0(VALU_DEP_1)
	v_cmp_eq_u32_e32 vcc_lo, 0, v4
	s_wait_xcnt 0x0
	s_and_saveexec_b32 s0, vcc_lo
	s_cbranch_execz .LBB2_12
; %bb.11:
	v_and_b32_e32 v7, 0x1ffffffc, v6
	s_wait_dscnt 0x0
	ds_store_b32 v7, v3
.LBB2_12:
	s_or_b32 exec_lo, exec_lo, s0
	v_dual_mov_b32 v8, 0x7c :: v_dual_lshlrev_b32 v9, 2, v4
	v_cmp_gt_u32_e64 s0, 32, v5
	v_and_b32_e32 v7, 3, v4
	s_wait_dscnt 0x0
	s_delay_alu instid0(VALU_DEP_3)
	v_or_b32_e32 v5, 8, v9
	s_barrier_signal -1
	s_barrier_wait -1
	s_and_saveexec_b32 s2, s0
	s_cbranch_execz .LBB2_14
; %bb.13:
	v_cmp_ne_u32_e64 s1, 3, v7
	s_delay_alu instid0(VALU_DEP_1) | instskip(NEXT) | instid1(VALU_DEP_1)
	v_add_co_ci_u32_e64 v9, null, 0, v4, s1
	v_dual_lshlrev_b32 v3, 2, v7 :: v_dual_lshlrev_b32 v9, 2, v9
	ds_load_b32 v3, v3
	s_wait_dscnt 0x0
	ds_bpermute_b32 v9, v9, v3
	s_wait_dscnt 0x0
	v_add_nc_u32_e32 v3, v9, v3
	ds_bpermute_b32 v9, v5, v3
	s_wait_dscnt 0x0
	v_add_nc_u32_e32 v3, v9, v3
.LBB2_14:
	s_or_b32 exec_lo, exec_lo, s2
	v_mov_b32_dpp v9, v2 quad_perm:[1,0,3,2] row_mask:0xf bank_mask:0xf
	s_delay_alu instid0(VALU_DEP_1) | instskip(NEXT) | instid1(VALU_DEP_1)
	v_add_nc_u32_e32 v2, v9, v2
	v_mov_b32_dpp v9, v2 quad_perm:[2,3,0,1] row_mask:0xf bank_mask:0xf
	s_delay_alu instid0(VALU_DEP_1) | instskip(NEXT) | instid1(VALU_DEP_1)
	v_add_nc_u32_e32 v2, v2, v9
	v_mov_b32_dpp v9, v2 row_ror:4 row_mask:0xf bank_mask:0xf
	s_delay_alu instid0(VALU_DEP_1) | instskip(NEXT) | instid1(VALU_DEP_1)
	v_add_nc_u32_e32 v2, v2, v9
	v_mov_b32_dpp v9, v2 row_ror:8 row_mask:0xf bank_mask:0xf
	s_delay_alu instid0(VALU_DEP_1)
	v_add_nc_u32_e32 v2, v2, v9
	ds_swizzle_b32 v9, v2 offset:swizzle(BROADCAST,32,15)
	s_wait_dscnt 0x0
	v_add_nc_u32_e32 v2, v2, v9
	ds_bpermute_b32 v2, v8, v2
	s_and_saveexec_b32 s1, vcc_lo
	s_cbranch_execz .LBB2_16
; %bb.15:
	v_and_b32_e32 v6, 0x1ffffffc, v6
	s_wait_dscnt 0x0
	ds_store_b32 v6, v2 offset:16
.LBB2_16:
	s_or_b32 exec_lo, exec_lo, s1
	s_wait_dscnt 0x0
	s_barrier_signal -1
	s_barrier_wait -1
	s_and_saveexec_b32 s1, s0
	s_cbranch_execz .LBB2_18
; %bb.17:
	v_cmp_ne_u32_e32 vcc_lo, 3, v7
	v_add_co_ci_u32_e64 v4, null, 0, v4, vcc_lo
	s_delay_alu instid0(VALU_DEP_1)
	v_dual_lshlrev_b32 v2, 2, v7 :: v_dual_lshlrev_b32 v4, 2, v4
	ds_load_b32 v2, v2 offset:16
	s_wait_dscnt 0x0
	ds_bpermute_b32 v4, v4, v2
	s_wait_dscnt 0x0
	v_add_nc_u32_e32 v2, v4, v2
	ds_bpermute_b32 v4, v5, v2
	s_wait_dscnt 0x0
	v_add_nc_u32_e32 v2, v4, v2
.LBB2_18:
	s_or_b32 exec_lo, exec_lo, s1
	v_or_b32_e32 v0, v1, v0
	s_mov_b32 s0, exec_lo
	s_delay_alu instid0(VALU_DEP_1)
	v_cmpx_eq_u32_e32 0, v0
	s_cbranch_execz .LBB2_20
; %bb.19:
	v_mov_b32_e32 v0, s11
	s_wait_kmcnt 0x0
	s_clause 0x1
	global_store_b32 v0, v3, s[4:5] scale_offset
	global_store_b32 v0, v2, s[6:7] scale_offset
.LBB2_20:
	s_endpgm
	.section	.rodata,"a",@progbits
	.p2align	6, 0x0
	.amdhsa_kernel _Z14ChannelSumNCHWIiLi4ELi32EEviiiPKT_PS0_S3_
		.amdhsa_group_segment_fixed_size 32
		.amdhsa_private_segment_fixed_size 0
		.amdhsa_kernarg_size 296
		.amdhsa_user_sgpr_count 2
		.amdhsa_user_sgpr_dispatch_ptr 0
		.amdhsa_user_sgpr_queue_ptr 0
		.amdhsa_user_sgpr_kernarg_segment_ptr 1
		.amdhsa_user_sgpr_dispatch_id 0
		.amdhsa_user_sgpr_kernarg_preload_length 0
		.amdhsa_user_sgpr_kernarg_preload_offset 0
		.amdhsa_user_sgpr_private_segment_size 0
		.amdhsa_wavefront_size32 1
		.amdhsa_uses_dynamic_stack 0
		.amdhsa_enable_private_segment 0
		.amdhsa_system_sgpr_workgroup_id_x 1
		.amdhsa_system_sgpr_workgroup_id_y 0
		.amdhsa_system_sgpr_workgroup_id_z 0
		.amdhsa_system_sgpr_workgroup_info 0
		.amdhsa_system_vgpr_workitem_id 1
		.amdhsa_next_free_vgpr 10
		.amdhsa_next_free_sgpr 19
		.amdhsa_named_barrier_count 0
		.amdhsa_reserve_vcc 1
		.amdhsa_float_round_mode_32 0
		.amdhsa_float_round_mode_16_64 0
		.amdhsa_float_denorm_mode_32 3
		.amdhsa_float_denorm_mode_16_64 3
		.amdhsa_fp16_overflow 0
		.amdhsa_memory_ordered 1
		.amdhsa_forward_progress 1
		.amdhsa_inst_pref_size 8
		.amdhsa_round_robin_scheduling 0
		.amdhsa_exception_fp_ieee_invalid_op 0
		.amdhsa_exception_fp_denorm_src 0
		.amdhsa_exception_fp_ieee_div_zero 0
		.amdhsa_exception_fp_ieee_overflow 0
		.amdhsa_exception_fp_ieee_underflow 0
		.amdhsa_exception_fp_ieee_inexact 0
		.amdhsa_exception_int_div_zero 0
	.end_amdhsa_kernel
	.section	.text._Z14ChannelSumNCHWIiLi4ELi32EEviiiPKT_PS0_S3_,"axG",@progbits,_Z14ChannelSumNCHWIiLi4ELi32EEviiiPKT_PS0_S3_,comdat
.Lfunc_end2:
	.size	_Z14ChannelSumNCHWIiLi4ELi32EEviiiPKT_PS0_S3_, .Lfunc_end2-_Z14ChannelSumNCHWIiLi4ELi32EEviiiPKT_PS0_S3_
                                        ; -- End function
	.set _Z14ChannelSumNCHWIiLi4ELi32EEviiiPKT_PS0_S3_.num_vgpr, 10
	.set _Z14ChannelSumNCHWIiLi4ELi32EEviiiPKT_PS0_S3_.num_agpr, 0
	.set _Z14ChannelSumNCHWIiLi4ELi32EEviiiPKT_PS0_S3_.numbered_sgpr, 19
	.set _Z14ChannelSumNCHWIiLi4ELi32EEviiiPKT_PS0_S3_.num_named_barrier, 0
	.set _Z14ChannelSumNCHWIiLi4ELi32EEviiiPKT_PS0_S3_.private_seg_size, 0
	.set _Z14ChannelSumNCHWIiLi4ELi32EEviiiPKT_PS0_S3_.uses_vcc, 1
	.set _Z14ChannelSumNCHWIiLi4ELi32EEviiiPKT_PS0_S3_.uses_flat_scratch, 0
	.set _Z14ChannelSumNCHWIiLi4ELi32EEviiiPKT_PS0_S3_.has_dyn_sized_stack, 0
	.set _Z14ChannelSumNCHWIiLi4ELi32EEviiiPKT_PS0_S3_.has_recursion, 0
	.set _Z14ChannelSumNCHWIiLi4ELi32EEviiiPKT_PS0_S3_.has_indirect_call, 0
	.section	.AMDGPU.csdata,"",@progbits
; Kernel info:
; codeLenInByte = 952
; TotalNumSgprs: 21
; NumVgprs: 10
; ScratchSize: 0
; MemoryBound: 0
; FloatMode: 240
; IeeeMode: 1
; LDSByteSize: 32 bytes/workgroup (compile time only)
; SGPRBlocks: 0
; VGPRBlocks: 0
; NumSGPRsForWavesPerEU: 21
; NumVGPRsForWavesPerEU: 10
; NamedBarCnt: 0
; Occupancy: 16
; WaveLimiterHint : 0
; COMPUTE_PGM_RSRC2:SCRATCH_EN: 0
; COMPUTE_PGM_RSRC2:USER_SGPR: 2
; COMPUTE_PGM_RSRC2:TRAP_HANDLER: 0
; COMPUTE_PGM_RSRC2:TGID_X_EN: 1
; COMPUTE_PGM_RSRC2:TGID_Y_EN: 0
; COMPUTE_PGM_RSRC2:TGID_Z_EN: 0
; COMPUTE_PGM_RSRC2:TIDIG_COMP_CNT: 1
	.section	.text._Z14ChannelSumNCHWIiLi8ELi16EEviiiPKT_PS0_S3_,"axG",@progbits,_Z14ChannelSumNCHWIiLi8ELi16EEviiiPKT_PS0_S3_,comdat
	.protected	_Z14ChannelSumNCHWIiLi8ELi16EEviiiPKT_PS0_S3_ ; -- Begin function _Z14ChannelSumNCHWIiLi8ELi16EEviiiPKT_PS0_S3_
	.globl	_Z14ChannelSumNCHWIiLi8ELi16EEviiiPKT_PS0_S3_
	.p2align	8
	.type	_Z14ChannelSumNCHWIiLi8ELi16EEviiiPKT_PS0_S3_,@function
_Z14ChannelSumNCHWIiLi8ELi16EEviiiPKT_PS0_S3_: ; @_Z14ChannelSumNCHWIiLi8ELi16EEviiiPKT_PS0_S3_
; %bb.0:
	s_load_b96 s[8:10], s[0:1], 0x0
	s_bfe_u32 s2, ttmp6, 0x4000c
	s_and_b32 s3, ttmp6, 15
	s_add_co_i32 s2, s2, 1
	v_and_b32_e32 v1, 0x3ff, v0
	s_mul_i32 s2, ttmp9, s2
	s_delay_alu instid0(SALU_CYCLE_1) | instskip(SKIP_1) | instid1(SALU_CYCLE_1)
	s_add_co_i32 s3, s3, s2
	s_getreg_b32 s2, hwreg(HW_REG_IB_STS2, 6, 4)
	s_cmp_eq_u32 s2, 0
                                        ; implicit-def: $sgpr2
	s_cselect_b32 s11, ttmp9, s3
	s_mov_b32 s3, exec_lo
	s_wait_kmcnt 0x0
	v_cmpx_le_i32_e64 s8, v1
	s_xor_b32 s3, exec_lo, s3
	s_cbranch_execz .LBB3_2
; %bb.1:
	s_load_b32 s2, s[0:1], 0x34
	s_wait_kmcnt 0x0
	s_and_b32 s2, s2, 0xffff
.LBB3_2:
	s_or_saveexec_b32 s14, s3
	s_load_b128 s[4:7], s[0:1], 0x18
	v_bfe_u32 v0, v0, 10, 10
	v_dual_mov_b32 v2, 0 :: v_dual_mov_b32 v5, s2
	v_mov_b32_e32 v3, 0
	s_xor_b32 exec_lo, exec_lo, s14
	s_cbranch_execz .LBB3_10
; %bb.3:
	s_clause 0x1
	s_load_b32 s12, s[0:1], 0x34
	s_load_b64 s[2:3], s[0:1], 0x10
	v_mad_u32 v2, v1, s9, s11
	v_mov_b32_e32 v5, v1
	s_mul_i32 s15, s10, s9
	v_cmp_gt_i32_e32 vcc_lo, s10, v0
	v_mov_b32_e32 v3, 0
	s_delay_alu instid0(VALU_DEP_4)
	v_mul_lo_u32 v4, s10, v2
	v_mov_b32_e32 v2, 0
	s_wait_kmcnt 0x0
	s_and_b32 s9, s12, 0xffff
	s_add_nc_u64 s[12:13], s[0:1], 40
	s_mul_i32 s15, s15, s9
	s_mov_b32 s1, 0
	s_branch .LBB3_5
.LBB3_4:                                ;   in Loop: Header=BB3_5 Depth=1
	s_or_b32 exec_lo, exec_lo, s16
	v_dual_add_nc_u32 v5, s9, v5 :: v_dual_add_nc_u32 v4, s15, v4
	s_delay_alu instid0(VALU_DEP_1) | instskip(SKIP_1) | instid1(SALU_CYCLE_1)
	v_cmp_le_i32_e64 s0, s8, v5
	s_or_b32 s1, s0, s1
	s_and_not1_b32 exec_lo, exec_lo, s1
	s_cbranch_execz .LBB3_9
.LBB3_5:                                ; =>This Loop Header: Depth=1
                                        ;     Child Loop BB3_7 Depth 2
	s_and_saveexec_b32 s16, vcc_lo
	s_cbranch_execz .LBB3_4
; %bb.6:                                ;   in Loop: Header=BB3_5 Depth=1
	s_load_u16 s17, s[12:13], 0xe
	v_mov_b32_e32 v6, v0
	s_mov_b32 s18, 0
.LBB3_7:                                ;   Parent Loop BB3_5 Depth=1
                                        ; =>  This Inner Loop Header: Depth=2
	s_wait_kmcnt 0x0
	s_delay_alu instid0(VALU_DEP_1)
	v_dual_add_nc_u32 v7, v4, v6 :: v_dual_add_nc_u32 v6, s17, v6
	global_load_b32 v7, v7, s[2:3] scale_offset
	v_cmp_le_i32_e64 s0, s10, v6
	s_or_b32 s18, s0, s18
	s_wait_loadcnt 0x0
	v_mad_u32 v2, v7, v7, v2
	v_add_nc_u32_e32 v3, v7, v3
	s_and_not1_b32 exec_lo, exec_lo, s18
	s_cbranch_execnz .LBB3_7
; %bb.8:                                ;   in Loop: Header=BB3_5 Depth=1
	s_or_b32 exec_lo, exec_lo, s18
	s_branch .LBB3_4
.LBB3_9:
	s_or_b32 exec_lo, exec_lo, s1
	v_mov_b32_e32 v5, s9
.LBB3_10:
	s_or_b32 exec_lo, exec_lo, s14
	s_delay_alu instid0(VALU_DEP_1) | instskip(NEXT) | instid1(VALU_DEP_2)
	v_mov_b32_dpp v4, v3 quad_perm:[1,0,3,2] row_mask:0xf bank_mask:0xf
	v_mad_u32_u24 v5, v0, v5, v1
	s_delay_alu instid0(VALU_DEP_1) | instskip(NEXT) | instid1(VALU_DEP_1)
	v_dual_add_nc_u32 v3, v4, v3 :: v_dual_lshrrev_b32 v6, 3, v5
	v_mov_b32_dpp v4, v3 quad_perm:[2,3,0,1] row_mask:0xf bank_mask:0xf
	s_delay_alu instid0(VALU_DEP_1) | instskip(NEXT) | instid1(VALU_DEP_1)
	v_add_nc_u32_e32 v3, v3, v4
	v_mov_b32_dpp v4, v3 row_ror:4 row_mask:0xf bank_mask:0xf
	s_delay_alu instid0(VALU_DEP_1) | instskip(NEXT) | instid1(VALU_DEP_1)
	v_add_nc_u32_e32 v3, v3, v4
	v_mov_b32_dpp v4, v3 row_ror:8 row_mask:0xf bank_mask:0xf
	s_delay_alu instid0(VALU_DEP_1)
	v_add_nc_u32_e32 v3, v3, v4
	ds_swizzle_b32 v4, v3 offset:swizzle(BROADCAST,32,15)
	s_wait_dscnt 0x0
	v_dual_mov_b32 v4, 0 :: v_dual_add_nc_u32 v3, v3, v4
	ds_bpermute_b32 v3, v4, v3 offset:124
	v_mbcnt_lo_u32_b32 v4, -1, 0
	s_delay_alu instid0(VALU_DEP_1)
	v_cmp_eq_u32_e32 vcc_lo, 0, v4
	s_wait_xcnt 0x0
	s_and_saveexec_b32 s0, vcc_lo
	s_cbranch_execz .LBB3_12
; %bb.11:
	v_and_b32_e32 v7, 0x1ffffffc, v6
	s_wait_dscnt 0x0
	ds_store_b32 v7, v3
.LBB3_12:
	s_or_b32 exec_lo, exec_lo, s0
	v_dual_mov_b32 v8, 0x7c :: v_dual_lshlrev_b32 v9, 2, v4
	v_cmp_gt_u32_e64 s0, 32, v5
	v_and_b32_e32 v7, 3, v4
	s_wait_dscnt 0x0
	s_delay_alu instid0(VALU_DEP_3)
	v_or_b32_e32 v5, 8, v9
	s_barrier_signal -1
	s_barrier_wait -1
	s_and_saveexec_b32 s2, s0
	s_cbranch_execz .LBB3_14
; %bb.13:
	v_cmp_ne_u32_e64 s1, 3, v7
	s_delay_alu instid0(VALU_DEP_1) | instskip(NEXT) | instid1(VALU_DEP_1)
	v_add_co_ci_u32_e64 v9, null, 0, v4, s1
	v_dual_lshlrev_b32 v3, 2, v7 :: v_dual_lshlrev_b32 v9, 2, v9
	ds_load_b32 v3, v3
	s_wait_dscnt 0x0
	ds_bpermute_b32 v9, v9, v3
	s_wait_dscnt 0x0
	v_add_nc_u32_e32 v3, v9, v3
	ds_bpermute_b32 v9, v5, v3
	s_wait_dscnt 0x0
	v_add_nc_u32_e32 v3, v9, v3
.LBB3_14:
	s_or_b32 exec_lo, exec_lo, s2
	v_mov_b32_dpp v9, v2 quad_perm:[1,0,3,2] row_mask:0xf bank_mask:0xf
	s_delay_alu instid0(VALU_DEP_1) | instskip(NEXT) | instid1(VALU_DEP_1)
	v_add_nc_u32_e32 v2, v9, v2
	v_mov_b32_dpp v9, v2 quad_perm:[2,3,0,1] row_mask:0xf bank_mask:0xf
	s_delay_alu instid0(VALU_DEP_1) | instskip(NEXT) | instid1(VALU_DEP_1)
	v_add_nc_u32_e32 v2, v2, v9
	v_mov_b32_dpp v9, v2 row_ror:4 row_mask:0xf bank_mask:0xf
	s_delay_alu instid0(VALU_DEP_1) | instskip(NEXT) | instid1(VALU_DEP_1)
	v_add_nc_u32_e32 v2, v2, v9
	v_mov_b32_dpp v9, v2 row_ror:8 row_mask:0xf bank_mask:0xf
	s_delay_alu instid0(VALU_DEP_1)
	v_add_nc_u32_e32 v2, v2, v9
	ds_swizzle_b32 v9, v2 offset:swizzle(BROADCAST,32,15)
	s_wait_dscnt 0x0
	v_add_nc_u32_e32 v2, v2, v9
	ds_bpermute_b32 v2, v8, v2
	s_and_saveexec_b32 s1, vcc_lo
	s_cbranch_execz .LBB3_16
; %bb.15:
	v_and_b32_e32 v6, 0x1ffffffc, v6
	s_wait_dscnt 0x0
	ds_store_b32 v6, v2 offset:16
.LBB3_16:
	s_or_b32 exec_lo, exec_lo, s1
	s_wait_dscnt 0x0
	s_barrier_signal -1
	s_barrier_wait -1
	s_and_saveexec_b32 s1, s0
	s_cbranch_execz .LBB3_18
; %bb.17:
	v_cmp_ne_u32_e32 vcc_lo, 3, v7
	v_add_co_ci_u32_e64 v4, null, 0, v4, vcc_lo
	s_delay_alu instid0(VALU_DEP_1)
	v_dual_lshlrev_b32 v2, 2, v7 :: v_dual_lshlrev_b32 v4, 2, v4
	ds_load_b32 v2, v2 offset:16
	s_wait_dscnt 0x0
	ds_bpermute_b32 v4, v4, v2
	s_wait_dscnt 0x0
	v_add_nc_u32_e32 v2, v4, v2
	ds_bpermute_b32 v4, v5, v2
	s_wait_dscnt 0x0
	v_add_nc_u32_e32 v2, v4, v2
.LBB3_18:
	s_or_b32 exec_lo, exec_lo, s1
	v_or_b32_e32 v0, v1, v0
	s_mov_b32 s0, exec_lo
	s_delay_alu instid0(VALU_DEP_1)
	v_cmpx_eq_u32_e32 0, v0
	s_cbranch_execz .LBB3_20
; %bb.19:
	v_mov_b32_e32 v0, s11
	s_wait_kmcnt 0x0
	s_clause 0x1
	global_store_b32 v0, v3, s[4:5] scale_offset
	global_store_b32 v0, v2, s[6:7] scale_offset
.LBB3_20:
	s_endpgm
	.section	.rodata,"a",@progbits
	.p2align	6, 0x0
	.amdhsa_kernel _Z14ChannelSumNCHWIiLi8ELi16EEviiiPKT_PS0_S3_
		.amdhsa_group_segment_fixed_size 32
		.amdhsa_private_segment_fixed_size 0
		.amdhsa_kernarg_size 296
		.amdhsa_user_sgpr_count 2
		.amdhsa_user_sgpr_dispatch_ptr 0
		.amdhsa_user_sgpr_queue_ptr 0
		.amdhsa_user_sgpr_kernarg_segment_ptr 1
		.amdhsa_user_sgpr_dispatch_id 0
		.amdhsa_user_sgpr_kernarg_preload_length 0
		.amdhsa_user_sgpr_kernarg_preload_offset 0
		.amdhsa_user_sgpr_private_segment_size 0
		.amdhsa_wavefront_size32 1
		.amdhsa_uses_dynamic_stack 0
		.amdhsa_enable_private_segment 0
		.amdhsa_system_sgpr_workgroup_id_x 1
		.amdhsa_system_sgpr_workgroup_id_y 0
		.amdhsa_system_sgpr_workgroup_id_z 0
		.amdhsa_system_sgpr_workgroup_info 0
		.amdhsa_system_vgpr_workitem_id 1
		.amdhsa_next_free_vgpr 10
		.amdhsa_next_free_sgpr 19
		.amdhsa_named_barrier_count 0
		.amdhsa_reserve_vcc 1
		.amdhsa_float_round_mode_32 0
		.amdhsa_float_round_mode_16_64 0
		.amdhsa_float_denorm_mode_32 3
		.amdhsa_float_denorm_mode_16_64 3
		.amdhsa_fp16_overflow 0
		.amdhsa_memory_ordered 1
		.amdhsa_forward_progress 1
		.amdhsa_inst_pref_size 8
		.amdhsa_round_robin_scheduling 0
		.amdhsa_exception_fp_ieee_invalid_op 0
		.amdhsa_exception_fp_denorm_src 0
		.amdhsa_exception_fp_ieee_div_zero 0
		.amdhsa_exception_fp_ieee_overflow 0
		.amdhsa_exception_fp_ieee_underflow 0
		.amdhsa_exception_fp_ieee_inexact 0
		.amdhsa_exception_int_div_zero 0
	.end_amdhsa_kernel
	.section	.text._Z14ChannelSumNCHWIiLi8ELi16EEviiiPKT_PS0_S3_,"axG",@progbits,_Z14ChannelSumNCHWIiLi8ELi16EEviiiPKT_PS0_S3_,comdat
.Lfunc_end3:
	.size	_Z14ChannelSumNCHWIiLi8ELi16EEviiiPKT_PS0_S3_, .Lfunc_end3-_Z14ChannelSumNCHWIiLi8ELi16EEviiiPKT_PS0_S3_
                                        ; -- End function
	.set _Z14ChannelSumNCHWIiLi8ELi16EEviiiPKT_PS0_S3_.num_vgpr, 10
	.set _Z14ChannelSumNCHWIiLi8ELi16EEviiiPKT_PS0_S3_.num_agpr, 0
	.set _Z14ChannelSumNCHWIiLi8ELi16EEviiiPKT_PS0_S3_.numbered_sgpr, 19
	.set _Z14ChannelSumNCHWIiLi8ELi16EEviiiPKT_PS0_S3_.num_named_barrier, 0
	.set _Z14ChannelSumNCHWIiLi8ELi16EEviiiPKT_PS0_S3_.private_seg_size, 0
	.set _Z14ChannelSumNCHWIiLi8ELi16EEviiiPKT_PS0_S3_.uses_vcc, 1
	.set _Z14ChannelSumNCHWIiLi8ELi16EEviiiPKT_PS0_S3_.uses_flat_scratch, 0
	.set _Z14ChannelSumNCHWIiLi8ELi16EEviiiPKT_PS0_S3_.has_dyn_sized_stack, 0
	.set _Z14ChannelSumNCHWIiLi8ELi16EEviiiPKT_PS0_S3_.has_recursion, 0
	.set _Z14ChannelSumNCHWIiLi8ELi16EEviiiPKT_PS0_S3_.has_indirect_call, 0
	.section	.AMDGPU.csdata,"",@progbits
; Kernel info:
; codeLenInByte = 952
; TotalNumSgprs: 21
; NumVgprs: 10
; ScratchSize: 0
; MemoryBound: 0
; FloatMode: 240
; IeeeMode: 1
; LDSByteSize: 32 bytes/workgroup (compile time only)
; SGPRBlocks: 0
; VGPRBlocks: 0
; NumSGPRsForWavesPerEU: 21
; NumVGPRsForWavesPerEU: 10
; NamedBarCnt: 0
; Occupancy: 16
; WaveLimiterHint : 0
; COMPUTE_PGM_RSRC2:SCRATCH_EN: 0
; COMPUTE_PGM_RSRC2:USER_SGPR: 2
; COMPUTE_PGM_RSRC2:TRAP_HANDLER: 0
; COMPUTE_PGM_RSRC2:TGID_X_EN: 1
; COMPUTE_PGM_RSRC2:TGID_Y_EN: 0
; COMPUTE_PGM_RSRC2:TGID_Z_EN: 0
; COMPUTE_PGM_RSRC2:TIDIG_COMP_CNT: 1
	.section	.text._Z14ChannelSumNHWCIiEviiiPKT_PS0_S3_,"axG",@progbits,_Z14ChannelSumNHWCIiEviiiPKT_PS0_S3_,comdat
	.protected	_Z14ChannelSumNHWCIiEviiiPKT_PS0_S3_ ; -- Begin function _Z14ChannelSumNHWCIiEviiiPKT_PS0_S3_
	.globl	_Z14ChannelSumNHWCIiEviiiPKT_PS0_S3_
	.p2align	8
	.type	_Z14ChannelSumNHWCIiEviiiPKT_PS0_S3_,@function
_Z14ChannelSumNHWCIiEviiiPKT_PS0_S3_:   ; @_Z14ChannelSumNHWCIiEviiiPKT_PS0_S3_
; %bb.0:
	s_clause 0x1
	s_load_b96 s[8:10], s[0:1], 0x0
	s_load_b128 s[4:7], s[0:1], 0x18
	s_bfe_u32 s3, ttmp6, 0x4000c
	s_and_b32 s2, ttmp6, 15
	s_add_co_i32 s3, s3, 1
	s_getreg_b32 s11, hwreg(HW_REG_IB_STS2, 6, 4)
	s_mul_i32 s3, ttmp9, s3
	v_dual_mov_b32 v1, 0 :: v_dual_mov_b32 v2, 0
	s_add_co_i32 s2, s2, s3
	s_cmp_eq_u32 s11, 0
	s_mov_b32 s12, 0
	s_mov_b32 s11, exec_lo
	s_wait_kmcnt 0x0
	s_mul_i32 s10, s10, s8
	s_cselect_b32 s8, ttmp9, s2
	v_cmpx_gt_i32_e64 s10, v0
	s_cbranch_execz .LBB4_4
; %bb.1:
	s_clause 0x1
	s_load_b32 s13, s[0:1], 0x34
	s_load_b64 s[2:3], s[0:1], 0x10
	v_mad_u32 v3, v0, s9, s8
	v_dual_mov_b32 v1, 0 :: v_dual_mov_b32 v2, 0
	v_mov_b32_e32 v4, v0
	s_wait_kmcnt 0x0
	s_and_b32 s0, s13, 0xffff
	s_delay_alu instid0(SALU_CYCLE_1)
	s_mul_i32 s1, s9, s0
.LBB4_2:                                ; =>This Inner Loop Header: Depth=1
	global_load_b32 v5, v3, s[2:3] scale_offset
	s_wait_xcnt 0x0
	v_dual_add_nc_u32 v4, s0, v4 :: v_dual_add_nc_u32 v3, s1, v3
	s_delay_alu instid0(VALU_DEP_1)
	v_cmp_le_i32_e32 vcc_lo, s10, v4
	s_or_b32 s12, vcc_lo, s12
	s_wait_loadcnt 0x0
	v_mad_u32 v1, v5, v5, v1
	v_add_nc_u32_e32 v2, v5, v2
	s_and_not1_b32 exec_lo, exec_lo, s12
	s_cbranch_execnz .LBB4_2
; %bb.3:
	s_or_b32 exec_lo, exec_lo, s12
.LBB4_4:
	s_delay_alu instid0(SALU_CYCLE_1) | instskip(SKIP_1) | instid1(VALU_DEP_1)
	s_or_b32 exec_lo, exec_lo, s11
	v_mov_b32_dpp v3, v2 quad_perm:[1,0,3,2] row_mask:0xf bank_mask:0xf
	v_dual_lshrrev_b32 v6, 3, v0 :: v_dual_add_nc_u32 v2, v3, v2
	s_delay_alu instid0(VALU_DEP_1) | instskip(NEXT) | instid1(VALU_DEP_1)
	v_mov_b32_dpp v3, v2 quad_perm:[2,3,0,1] row_mask:0xf bank_mask:0xf
	v_add_nc_u32_e32 v2, v2, v3
	s_delay_alu instid0(VALU_DEP_1) | instskip(NEXT) | instid1(VALU_DEP_1)
	v_mov_b32_dpp v3, v2 row_ror:4 row_mask:0xf bank_mask:0xf
	v_add_nc_u32_e32 v2, v2, v3
	s_delay_alu instid0(VALU_DEP_1) | instskip(NEXT) | instid1(VALU_DEP_1)
	v_mov_b32_dpp v3, v2 row_ror:8 row_mask:0xf bank_mask:0xf
	v_add_nc_u32_e32 v2, v2, v3
	ds_swizzle_b32 v3, v2 offset:swizzle(BROADCAST,32,15)
	s_wait_dscnt 0x0
	v_dual_mov_b32 v3, 0 :: v_dual_add_nc_u32 v2, v2, v3
	ds_bpermute_b32 v2, v3, v2 offset:124
	v_mbcnt_lo_u32_b32 v3, -1, 0
	s_delay_alu instid0(VALU_DEP_1)
	v_cmp_eq_u32_e32 vcc_lo, 0, v3
	s_and_saveexec_b32 s0, vcc_lo
	s_cbranch_execz .LBB4_6
; %bb.5:
	v_and_b32_e32 v4, 0x7c, v6
	s_wait_dscnt 0x0
	ds_store_b32 v4, v2
.LBB4_6:
	s_or_b32 exec_lo, exec_lo, s0
	v_dual_mov_b32 v7, 0x7c :: v_dual_lshlrev_b32 v4, 2, v3
	v_cmp_gt_u32_e64 s0, 32, v0
	v_and_b32_e32 v5, 7, v3
	s_wait_dscnt 0x0
	s_delay_alu instid0(VALU_DEP_3)
	v_or_b32_e32 v4, 16, v4
	s_barrier_signal -1
	s_barrier_wait -1
	s_and_saveexec_b32 s2, s0
	s_cbranch_execz .LBB4_8
; %bb.7:
	v_cmp_ne_u32_e64 s1, 7, v5
	s_delay_alu instid0(VALU_DEP_1) | instskip(SKIP_2) | instid1(VALU_DEP_3)
	v_add_co_ci_u32_e64 v8, null, 0, v3, s1
	v_lshlrev_b32_e32 v2, 2, v5
	v_cmp_gt_u32_e64 s1, 6, v5
	v_lshlrev_b32_e32 v8, 2, v8
	ds_load_b32 v2, v2
	v_cndmask_b32_e64 v9, 0, 2, s1
	s_wait_dscnt 0x0
	ds_bpermute_b32 v8, v8, v2
	s_wait_dscnt 0x0
	v_add_nc_u32_e32 v2, v8, v2
	v_add_lshl_u32 v8, v9, v3, 2
	ds_bpermute_b32 v8, v8, v2
	s_wait_dscnt 0x0
	v_add_nc_u32_e32 v2, v8, v2
	ds_bpermute_b32 v8, v4, v2
	s_wait_dscnt 0x0
	v_add_nc_u32_e32 v2, v8, v2
.LBB4_8:
	s_or_b32 exec_lo, exec_lo, s2
	v_mov_b32_dpp v8, v1 quad_perm:[1,0,3,2] row_mask:0xf bank_mask:0xf
	s_delay_alu instid0(VALU_DEP_1) | instskip(NEXT) | instid1(VALU_DEP_1)
	v_add_nc_u32_e32 v1, v8, v1
	v_mov_b32_dpp v8, v1 quad_perm:[2,3,0,1] row_mask:0xf bank_mask:0xf
	s_delay_alu instid0(VALU_DEP_1) | instskip(NEXT) | instid1(VALU_DEP_1)
	v_add_nc_u32_e32 v1, v1, v8
	v_mov_b32_dpp v8, v1 row_ror:4 row_mask:0xf bank_mask:0xf
	s_delay_alu instid0(VALU_DEP_1) | instskip(NEXT) | instid1(VALU_DEP_1)
	v_add_nc_u32_e32 v1, v1, v8
	v_mov_b32_dpp v8, v1 row_ror:8 row_mask:0xf bank_mask:0xf
	s_delay_alu instid0(VALU_DEP_1)
	v_add_nc_u32_e32 v1, v1, v8
	ds_swizzle_b32 v8, v1 offset:swizzle(BROADCAST,32,15)
	s_wait_dscnt 0x0
	v_add_nc_u32_e32 v1, v1, v8
	ds_bpermute_b32 v1, v7, v1
	s_and_saveexec_b32 s1, vcc_lo
	s_cbranch_execz .LBB4_10
; %bb.9:
	v_and_b32_e32 v6, 0x7c, v6
	s_wait_dscnt 0x0
	ds_store_b32 v6, v1 offset:32
.LBB4_10:
	s_or_b32 exec_lo, exec_lo, s1
	s_wait_dscnt 0x0
	s_barrier_signal -1
	s_barrier_wait -1
	s_and_saveexec_b32 s1, s0
	s_cbranch_execz .LBB4_12
; %bb.11:
	v_cmp_ne_u32_e32 vcc_lo, 7, v5
	v_add_co_ci_u32_e64 v6, null, 0, v3, vcc_lo
	v_lshlrev_b32_e32 v1, 2, v5
	v_cmp_gt_u32_e32 vcc_lo, 6, v5
	s_delay_alu instid0(VALU_DEP_3) | instskip(SKIP_2) | instid1(VALU_DEP_1)
	v_lshlrev_b32_e32 v6, 2, v6
	ds_load_b32 v1, v1 offset:32
	v_cndmask_b32_e64 v5, 0, 2, vcc_lo
	v_add_lshl_u32 v3, v5, v3, 2
	s_wait_dscnt 0x0
	ds_bpermute_b32 v6, v6, v1
	s_wait_dscnt 0x0
	v_add_nc_u32_e32 v1, v6, v1
	ds_bpermute_b32 v3, v3, v1
	s_wait_dscnt 0x0
	v_add_nc_u32_e32 v1, v3, v1
	;; [unrolled: 3-line block ×3, first 2 shown]
.LBB4_12:
	s_or_b32 exec_lo, exec_lo, s1
	s_delay_alu instid0(SALU_CYCLE_1)
	s_mov_b32 s0, exec_lo
	v_cmpx_eq_u32_e32 0, v0
	s_cbranch_execz .LBB4_14
; %bb.13:
	v_mov_b32_e32 v0, s8
	s_clause 0x1
	global_store_b32 v0, v2, s[4:5] scale_offset
	global_store_b32 v0, v1, s[6:7] scale_offset
.LBB4_14:
	s_endpgm
	.section	.rodata,"a",@progbits
	.p2align	6, 0x0
	.amdhsa_kernel _Z14ChannelSumNHWCIiEviiiPKT_PS0_S3_
		.amdhsa_group_segment_fixed_size 64
		.amdhsa_private_segment_fixed_size 0
		.amdhsa_kernarg_size 296
		.amdhsa_user_sgpr_count 2
		.amdhsa_user_sgpr_dispatch_ptr 0
		.amdhsa_user_sgpr_queue_ptr 0
		.amdhsa_user_sgpr_kernarg_segment_ptr 1
		.amdhsa_user_sgpr_dispatch_id 0
		.amdhsa_user_sgpr_kernarg_preload_length 0
		.amdhsa_user_sgpr_kernarg_preload_offset 0
		.amdhsa_user_sgpr_private_segment_size 0
		.amdhsa_wavefront_size32 1
		.amdhsa_uses_dynamic_stack 0
		.amdhsa_enable_private_segment 0
		.amdhsa_system_sgpr_workgroup_id_x 1
		.amdhsa_system_sgpr_workgroup_id_y 0
		.amdhsa_system_sgpr_workgroup_id_z 0
		.amdhsa_system_sgpr_workgroup_info 0
		.amdhsa_system_vgpr_workitem_id 0
		.amdhsa_next_free_vgpr 10
		.amdhsa_next_free_sgpr 14
		.amdhsa_named_barrier_count 0
		.amdhsa_reserve_vcc 1
		.amdhsa_float_round_mode_32 0
		.amdhsa_float_round_mode_16_64 0
		.amdhsa_float_denorm_mode_32 3
		.amdhsa_float_denorm_mode_16_64 3
		.amdhsa_fp16_overflow 0
		.amdhsa_memory_ordered 1
		.amdhsa_forward_progress 1
		.amdhsa_inst_pref_size 7
		.amdhsa_round_robin_scheduling 0
		.amdhsa_exception_fp_ieee_invalid_op 0
		.amdhsa_exception_fp_denorm_src 0
		.amdhsa_exception_fp_ieee_div_zero 0
		.amdhsa_exception_fp_ieee_overflow 0
		.amdhsa_exception_fp_ieee_underflow 0
		.amdhsa_exception_fp_ieee_inexact 0
		.amdhsa_exception_int_div_zero 0
	.end_amdhsa_kernel
	.section	.text._Z14ChannelSumNHWCIiEviiiPKT_PS0_S3_,"axG",@progbits,_Z14ChannelSumNHWCIiEviiiPKT_PS0_S3_,comdat
.Lfunc_end4:
	.size	_Z14ChannelSumNHWCIiEviiiPKT_PS0_S3_, .Lfunc_end4-_Z14ChannelSumNHWCIiEviiiPKT_PS0_S3_
                                        ; -- End function
	.set _Z14ChannelSumNHWCIiEviiiPKT_PS0_S3_.num_vgpr, 10
	.set _Z14ChannelSumNHWCIiEviiiPKT_PS0_S3_.num_agpr, 0
	.set _Z14ChannelSumNHWCIiEviiiPKT_PS0_S3_.numbered_sgpr, 14
	.set _Z14ChannelSumNHWCIiEviiiPKT_PS0_S3_.num_named_barrier, 0
	.set _Z14ChannelSumNHWCIiEviiiPKT_PS0_S3_.private_seg_size, 0
	.set _Z14ChannelSumNHWCIiEviiiPKT_PS0_S3_.uses_vcc, 1
	.set _Z14ChannelSumNHWCIiEviiiPKT_PS0_S3_.uses_flat_scratch, 0
	.set _Z14ChannelSumNHWCIiEviiiPKT_PS0_S3_.has_dyn_sized_stack, 0
	.set _Z14ChannelSumNHWCIiEviiiPKT_PS0_S3_.has_recursion, 0
	.set _Z14ChannelSumNHWCIiEviiiPKT_PS0_S3_.has_indirect_call, 0
	.section	.AMDGPU.csdata,"",@progbits
; Kernel info:
; codeLenInByte = 840
; TotalNumSgprs: 16
; NumVgprs: 10
; ScratchSize: 0
; MemoryBound: 0
; FloatMode: 240
; IeeeMode: 1
; LDSByteSize: 64 bytes/workgroup (compile time only)
; SGPRBlocks: 0
; VGPRBlocks: 0
; NumSGPRsForWavesPerEU: 16
; NumVGPRsForWavesPerEU: 10
; NamedBarCnt: 0
; Occupancy: 16
; WaveLimiterHint : 0
; COMPUTE_PGM_RSRC2:SCRATCH_EN: 0
; COMPUTE_PGM_RSRC2:USER_SGPR: 2
; COMPUTE_PGM_RSRC2:TRAP_HANDLER: 0
; COMPUTE_PGM_RSRC2:TGID_X_EN: 1
; COMPUTE_PGM_RSRC2:TGID_Y_EN: 0
; COMPUTE_PGM_RSRC2:TGID_Z_EN: 0
; COMPUTE_PGM_RSRC2:TIDIG_COMP_CNT: 0
	.section	.AMDGPU.gpr_maximums,"",@progbits
	.set amdgpu.max_num_vgpr, 0
	.set amdgpu.max_num_agpr, 0
	.set amdgpu.max_num_sgpr, 0
	.section	.AMDGPU.csdata,"",@progbits
	.type	__hip_cuid_955b69294b40aaa1,@object ; @__hip_cuid_955b69294b40aaa1
	.section	.bss,"aw",@nobits
	.globl	__hip_cuid_955b69294b40aaa1
__hip_cuid_955b69294b40aaa1:
	.byte	0                               ; 0x0
	.size	__hip_cuid_955b69294b40aaa1, 1

	.ident	"AMD clang version 22.0.0git (https://github.com/RadeonOpenCompute/llvm-project roc-7.2.4 26084 f58b06dce1f9c15707c5f808fd002e18c2accf7e)"
	.section	".note.GNU-stack","",@progbits
	.addrsig
	.addrsig_sym __hip_cuid_955b69294b40aaa1
	.amdgpu_metadata
---
amdhsa.kernels:
  - .args:
      - .offset:         0
        .size:           4
        .value_kind:     by_value
      - .offset:         4
        .size:           4
        .value_kind:     by_value
      - .offset:         8
        .size:           4
        .value_kind:     by_value
      - .address_space:  global
        .offset:         16
        .size:           8
        .value_kind:     global_buffer
      - .actual_access:  write_only
        .address_space:  global
        .offset:         24
        .size:           8
        .value_kind:     global_buffer
      - .actual_access:  write_only
        .address_space:  global
        .offset:         32
        .size:           8
        .value_kind:     global_buffer
      - .offset:         40
        .size:           4
        .value_kind:     hidden_block_count_x
      - .offset:         44
        .size:           4
        .value_kind:     hidden_block_count_y
      - .offset:         48
        .size:           4
        .value_kind:     hidden_block_count_z
      - .offset:         52
        .size:           2
        .value_kind:     hidden_group_size_x
      - .offset:         54
        .size:           2
        .value_kind:     hidden_group_size_y
      - .offset:         56
        .size:           2
        .value_kind:     hidden_group_size_z
      - .offset:         58
        .size:           2
        .value_kind:     hidden_remainder_x
      - .offset:         60
        .size:           2
        .value_kind:     hidden_remainder_y
      - .offset:         62
        .size:           2
        .value_kind:     hidden_remainder_z
      - .offset:         80
        .size:           8
        .value_kind:     hidden_global_offset_x
      - .offset:         88
        .size:           8
        .value_kind:     hidden_global_offset_y
      - .offset:         96
        .size:           8
        .value_kind:     hidden_global_offset_z
      - .offset:         104
        .size:           2
        .value_kind:     hidden_grid_dims
    .group_segment_fixed_size: 32
    .kernarg_segment_align: 8
    .kernarg_segment_size: 296
    .language:       OpenCL C
    .language_version:
      - 2
      - 0
    .max_flat_workgroup_size: 1024
    .name:           _Z14ChannelSumNCHWIiLi1ELi128EEviiiPKT_PS0_S3_
    .private_segment_fixed_size: 0
    .sgpr_count:     21
    .sgpr_spill_count: 0
    .symbol:         _Z14ChannelSumNCHWIiLi1ELi128EEviiiPKT_PS0_S3_.kd
    .uniform_work_group_size: 1
    .uses_dynamic_stack: false
    .vgpr_count:     10
    .vgpr_spill_count: 0
    .wavefront_size: 32
  - .args:
      - .offset:         0
        .size:           4
        .value_kind:     by_value
      - .offset:         4
        .size:           4
        .value_kind:     by_value
      - .offset:         8
        .size:           4
        .value_kind:     by_value
      - .address_space:  global
        .offset:         16
        .size:           8
        .value_kind:     global_buffer
      - .actual_access:  write_only
        .address_space:  global
        .offset:         24
        .size:           8
        .value_kind:     global_buffer
      - .actual_access:  write_only
        .address_space:  global
        .offset:         32
        .size:           8
        .value_kind:     global_buffer
      - .offset:         40
        .size:           4
        .value_kind:     hidden_block_count_x
      - .offset:         44
        .size:           4
        .value_kind:     hidden_block_count_y
      - .offset:         48
        .size:           4
        .value_kind:     hidden_block_count_z
      - .offset:         52
        .size:           2
        .value_kind:     hidden_group_size_x
      - .offset:         54
        .size:           2
        .value_kind:     hidden_group_size_y
      - .offset:         56
        .size:           2
        .value_kind:     hidden_group_size_z
      - .offset:         58
        .size:           2
        .value_kind:     hidden_remainder_x
      - .offset:         60
        .size:           2
        .value_kind:     hidden_remainder_y
      - .offset:         62
        .size:           2
        .value_kind:     hidden_remainder_z
      - .offset:         80
        .size:           8
        .value_kind:     hidden_global_offset_x
      - .offset:         88
        .size:           8
        .value_kind:     hidden_global_offset_y
      - .offset:         96
        .size:           8
        .value_kind:     hidden_global_offset_z
      - .offset:         104
        .size:           2
        .value_kind:     hidden_grid_dims
    .group_segment_fixed_size: 32
    .kernarg_segment_align: 8
    .kernarg_segment_size: 296
    .language:       OpenCL C
    .language_version:
      - 2
      - 0
    .max_flat_workgroup_size: 1024
    .name:           _Z14ChannelSumNCHWIiLi2ELi64EEviiiPKT_PS0_S3_
    .private_segment_fixed_size: 0
    .sgpr_count:     21
    .sgpr_spill_count: 0
    .symbol:         _Z14ChannelSumNCHWIiLi2ELi64EEviiiPKT_PS0_S3_.kd
    .uniform_work_group_size: 1
    .uses_dynamic_stack: false
    .vgpr_count:     10
    .vgpr_spill_count: 0
    .wavefront_size: 32
  - .args:
      - .offset:         0
        .size:           4
        .value_kind:     by_value
      - .offset:         4
        .size:           4
        .value_kind:     by_value
      - .offset:         8
        .size:           4
        .value_kind:     by_value
      - .address_space:  global
        .offset:         16
        .size:           8
        .value_kind:     global_buffer
      - .actual_access:  write_only
        .address_space:  global
        .offset:         24
        .size:           8
        .value_kind:     global_buffer
      - .actual_access:  write_only
        .address_space:  global
        .offset:         32
        .size:           8
        .value_kind:     global_buffer
      - .offset:         40
        .size:           4
        .value_kind:     hidden_block_count_x
      - .offset:         44
        .size:           4
        .value_kind:     hidden_block_count_y
      - .offset:         48
        .size:           4
        .value_kind:     hidden_block_count_z
      - .offset:         52
        .size:           2
        .value_kind:     hidden_group_size_x
      - .offset:         54
        .size:           2
        .value_kind:     hidden_group_size_y
      - .offset:         56
        .size:           2
        .value_kind:     hidden_group_size_z
      - .offset:         58
        .size:           2
        .value_kind:     hidden_remainder_x
      - .offset:         60
        .size:           2
        .value_kind:     hidden_remainder_y
      - .offset:         62
        .size:           2
        .value_kind:     hidden_remainder_z
      - .offset:         80
        .size:           8
        .value_kind:     hidden_global_offset_x
      - .offset:         88
        .size:           8
        .value_kind:     hidden_global_offset_y
      - .offset:         96
        .size:           8
        .value_kind:     hidden_global_offset_z
      - .offset:         104
        .size:           2
        .value_kind:     hidden_grid_dims
    .group_segment_fixed_size: 32
    .kernarg_segment_align: 8
    .kernarg_segment_size: 296
    .language:       OpenCL C
    .language_version:
      - 2
      - 0
    .max_flat_workgroup_size: 1024
    .name:           _Z14ChannelSumNCHWIiLi4ELi32EEviiiPKT_PS0_S3_
    .private_segment_fixed_size: 0
    .sgpr_count:     21
    .sgpr_spill_count: 0
    .symbol:         _Z14ChannelSumNCHWIiLi4ELi32EEviiiPKT_PS0_S3_.kd
    .uniform_work_group_size: 1
    .uses_dynamic_stack: false
    .vgpr_count:     10
    .vgpr_spill_count: 0
    .wavefront_size: 32
  - .args:
      - .offset:         0
        .size:           4
        .value_kind:     by_value
      - .offset:         4
        .size:           4
        .value_kind:     by_value
      - .offset:         8
        .size:           4
        .value_kind:     by_value
      - .address_space:  global
        .offset:         16
        .size:           8
        .value_kind:     global_buffer
      - .actual_access:  write_only
        .address_space:  global
        .offset:         24
        .size:           8
        .value_kind:     global_buffer
      - .actual_access:  write_only
        .address_space:  global
        .offset:         32
        .size:           8
        .value_kind:     global_buffer
      - .offset:         40
        .size:           4
        .value_kind:     hidden_block_count_x
      - .offset:         44
        .size:           4
        .value_kind:     hidden_block_count_y
      - .offset:         48
        .size:           4
        .value_kind:     hidden_block_count_z
      - .offset:         52
        .size:           2
        .value_kind:     hidden_group_size_x
      - .offset:         54
        .size:           2
        .value_kind:     hidden_group_size_y
      - .offset:         56
        .size:           2
        .value_kind:     hidden_group_size_z
      - .offset:         58
        .size:           2
        .value_kind:     hidden_remainder_x
      - .offset:         60
        .size:           2
        .value_kind:     hidden_remainder_y
      - .offset:         62
        .size:           2
        .value_kind:     hidden_remainder_z
      - .offset:         80
        .size:           8
        .value_kind:     hidden_global_offset_x
      - .offset:         88
        .size:           8
        .value_kind:     hidden_global_offset_y
      - .offset:         96
        .size:           8
        .value_kind:     hidden_global_offset_z
      - .offset:         104
        .size:           2
        .value_kind:     hidden_grid_dims
    .group_segment_fixed_size: 32
    .kernarg_segment_align: 8
    .kernarg_segment_size: 296
    .language:       OpenCL C
    .language_version:
      - 2
      - 0
    .max_flat_workgroup_size: 1024
    .name:           _Z14ChannelSumNCHWIiLi8ELi16EEviiiPKT_PS0_S3_
    .private_segment_fixed_size: 0
    .sgpr_count:     21
    .sgpr_spill_count: 0
    .symbol:         _Z14ChannelSumNCHWIiLi8ELi16EEviiiPKT_PS0_S3_.kd
    .uniform_work_group_size: 1
    .uses_dynamic_stack: false
    .vgpr_count:     10
    .vgpr_spill_count: 0
    .wavefront_size: 32
  - .args:
      - .offset:         0
        .size:           4
        .value_kind:     by_value
      - .offset:         4
        .size:           4
        .value_kind:     by_value
      - .offset:         8
        .size:           4
        .value_kind:     by_value
      - .address_space:  global
        .offset:         16
        .size:           8
        .value_kind:     global_buffer
      - .actual_access:  write_only
        .address_space:  global
        .offset:         24
        .size:           8
        .value_kind:     global_buffer
      - .actual_access:  write_only
        .address_space:  global
        .offset:         32
        .size:           8
        .value_kind:     global_buffer
      - .offset:         40
        .size:           4
        .value_kind:     hidden_block_count_x
      - .offset:         44
        .size:           4
        .value_kind:     hidden_block_count_y
      - .offset:         48
        .size:           4
        .value_kind:     hidden_block_count_z
      - .offset:         52
        .size:           2
        .value_kind:     hidden_group_size_x
      - .offset:         54
        .size:           2
        .value_kind:     hidden_group_size_y
      - .offset:         56
        .size:           2
        .value_kind:     hidden_group_size_z
      - .offset:         58
        .size:           2
        .value_kind:     hidden_remainder_x
      - .offset:         60
        .size:           2
        .value_kind:     hidden_remainder_y
      - .offset:         62
        .size:           2
        .value_kind:     hidden_remainder_z
      - .offset:         80
        .size:           8
        .value_kind:     hidden_global_offset_x
      - .offset:         88
        .size:           8
        .value_kind:     hidden_global_offset_y
      - .offset:         96
        .size:           8
        .value_kind:     hidden_global_offset_z
      - .offset:         104
        .size:           2
        .value_kind:     hidden_grid_dims
    .group_segment_fixed_size: 64
    .kernarg_segment_align: 8
    .kernarg_segment_size: 296
    .language:       OpenCL C
    .language_version:
      - 2
      - 0
    .max_flat_workgroup_size: 1024
    .name:           _Z14ChannelSumNHWCIiEviiiPKT_PS0_S3_
    .private_segment_fixed_size: 0
    .sgpr_count:     16
    .sgpr_spill_count: 0
    .symbol:         _Z14ChannelSumNHWCIiEviiiPKT_PS0_S3_.kd
    .uniform_work_group_size: 1
    .uses_dynamic_stack: false
    .vgpr_count:     10
    .vgpr_spill_count: 0
    .wavefront_size: 32
amdhsa.target:   amdgcn-amd-amdhsa--gfx1250
amdhsa.version:
  - 1
  - 2
...

	.end_amdgpu_metadata
